;; amdgpu-corpus repo=ROCm/rocFFT kind=compiled arch=gfx1030 opt=O3
	.text
	.amdgcn_target "amdgcn-amd-amdhsa--gfx1030"
	.amdhsa_code_object_version 6
	.protected	fft_rtc_fwd_len1300_factors_10_10_13_wgs_130_tpt_130_dp_ip_CI_unitstride_sbrr_C2R_dirReg ; -- Begin function fft_rtc_fwd_len1300_factors_10_10_13_wgs_130_tpt_130_dp_ip_CI_unitstride_sbrr_C2R_dirReg
	.globl	fft_rtc_fwd_len1300_factors_10_10_13_wgs_130_tpt_130_dp_ip_CI_unitstride_sbrr_C2R_dirReg
	.p2align	8
	.type	fft_rtc_fwd_len1300_factors_10_10_13_wgs_130_tpt_130_dp_ip_CI_unitstride_sbrr_C2R_dirReg,@function
fft_rtc_fwd_len1300_factors_10_10_13_wgs_130_tpt_130_dp_ip_CI_unitstride_sbrr_C2R_dirReg: ; @fft_rtc_fwd_len1300_factors_10_10_13_wgs_130_tpt_130_dp_ip_CI_unitstride_sbrr_C2R_dirReg
; %bb.0:
	s_clause 0x2
	s_load_dwordx4 s[8:11], s[4:5], 0x0
	s_load_dwordx2 s[2:3], s[4:5], 0x50
	s_load_dwordx2 s[12:13], s[4:5], 0x18
	v_mul_u32_u24_e32 v1, 0x1f9, v0
	v_mov_b32_e32 v3, 0
	v_add_nc_u32_sdwa v5, s6, v1 dst_sel:DWORD dst_unused:UNUSED_PAD src0_sel:DWORD src1_sel:WORD_1
	v_mov_b32_e32 v1, 0
	v_mov_b32_e32 v6, v3
	v_mov_b32_e32 v2, 0
	s_waitcnt lgkmcnt(0)
	v_cmp_lt_u64_e64 s0, s[10:11], 2
	s_and_b32 vcc_lo, exec_lo, s0
	s_cbranch_vccnz .LBB0_8
; %bb.1:
	s_load_dwordx2 s[0:1], s[4:5], 0x10
	v_mov_b32_e32 v1, 0
	s_add_u32 s6, s12, 8
	v_mov_b32_e32 v2, 0
	s_addc_u32 s7, s13, 0
	s_mov_b64 s[16:17], 1
	s_waitcnt lgkmcnt(0)
	s_add_u32 s14, s0, 8
	s_addc_u32 s15, s1, 0
.LBB0_2:                                ; =>This Inner Loop Header: Depth=1
	s_load_dwordx2 s[18:19], s[14:15], 0x0
                                        ; implicit-def: $vgpr7_vgpr8
	s_mov_b32 s0, exec_lo
	s_waitcnt lgkmcnt(0)
	v_or_b32_e32 v4, s19, v6
	v_cmpx_ne_u64_e32 0, v[3:4]
	s_xor_b32 s1, exec_lo, s0
	s_cbranch_execz .LBB0_4
; %bb.3:                                ;   in Loop: Header=BB0_2 Depth=1
	v_cvt_f32_u32_e32 v4, s18
	v_cvt_f32_u32_e32 v7, s19
	s_sub_u32 s0, 0, s18
	s_subb_u32 s20, 0, s19
	v_fmac_f32_e32 v4, 0x4f800000, v7
	v_rcp_f32_e32 v4, v4
	v_mul_f32_e32 v4, 0x5f7ffffc, v4
	v_mul_f32_e32 v7, 0x2f800000, v4
	v_trunc_f32_e32 v7, v7
	v_fmac_f32_e32 v4, 0xcf800000, v7
	v_cvt_u32_f32_e32 v7, v7
	v_cvt_u32_f32_e32 v4, v4
	v_mul_lo_u32 v8, s0, v7
	v_mul_hi_u32 v9, s0, v4
	v_mul_lo_u32 v10, s20, v4
	v_add_nc_u32_e32 v8, v9, v8
	v_mul_lo_u32 v9, s0, v4
	v_add_nc_u32_e32 v8, v8, v10
	v_mul_hi_u32 v10, v4, v9
	v_mul_lo_u32 v11, v4, v8
	v_mul_hi_u32 v12, v4, v8
	v_mul_hi_u32 v13, v7, v9
	v_mul_lo_u32 v9, v7, v9
	v_mul_hi_u32 v14, v7, v8
	v_mul_lo_u32 v8, v7, v8
	v_add_co_u32 v10, vcc_lo, v10, v11
	v_add_co_ci_u32_e32 v11, vcc_lo, 0, v12, vcc_lo
	v_add_co_u32 v9, vcc_lo, v10, v9
	v_add_co_ci_u32_e32 v9, vcc_lo, v11, v13, vcc_lo
	v_add_co_ci_u32_e32 v10, vcc_lo, 0, v14, vcc_lo
	v_add_co_u32 v8, vcc_lo, v9, v8
	v_add_co_ci_u32_e32 v9, vcc_lo, 0, v10, vcc_lo
	v_add_co_u32 v4, vcc_lo, v4, v8
	v_add_co_ci_u32_e32 v7, vcc_lo, v7, v9, vcc_lo
	v_mul_hi_u32 v8, s0, v4
	v_mul_lo_u32 v10, s20, v4
	v_mul_lo_u32 v9, s0, v7
	v_add_nc_u32_e32 v8, v8, v9
	v_mul_lo_u32 v9, s0, v4
	v_add_nc_u32_e32 v8, v8, v10
	v_mul_hi_u32 v10, v4, v9
	v_mul_lo_u32 v11, v4, v8
	v_mul_hi_u32 v12, v4, v8
	v_mul_hi_u32 v13, v7, v9
	v_mul_lo_u32 v9, v7, v9
	v_mul_hi_u32 v14, v7, v8
	v_mul_lo_u32 v8, v7, v8
	v_add_co_u32 v10, vcc_lo, v10, v11
	v_add_co_ci_u32_e32 v11, vcc_lo, 0, v12, vcc_lo
	v_add_co_u32 v9, vcc_lo, v10, v9
	v_add_co_ci_u32_e32 v9, vcc_lo, v11, v13, vcc_lo
	v_add_co_ci_u32_e32 v10, vcc_lo, 0, v14, vcc_lo
	v_add_co_u32 v8, vcc_lo, v9, v8
	v_add_co_ci_u32_e32 v9, vcc_lo, 0, v10, vcc_lo
	v_add_co_u32 v4, vcc_lo, v4, v8
	v_add_co_ci_u32_e32 v11, vcc_lo, v7, v9, vcc_lo
	v_mul_hi_u32 v13, v5, v4
	v_mad_u64_u32 v[9:10], null, v6, v4, 0
	v_mad_u64_u32 v[7:8], null, v5, v11, 0
	;; [unrolled: 1-line block ×3, first 2 shown]
	v_add_co_u32 v4, vcc_lo, v13, v7
	v_add_co_ci_u32_e32 v7, vcc_lo, 0, v8, vcc_lo
	v_add_co_u32 v4, vcc_lo, v4, v9
	v_add_co_ci_u32_e32 v4, vcc_lo, v7, v10, vcc_lo
	v_add_co_ci_u32_e32 v7, vcc_lo, 0, v12, vcc_lo
	v_add_co_u32 v4, vcc_lo, v4, v11
	v_add_co_ci_u32_e32 v9, vcc_lo, 0, v7, vcc_lo
	v_mul_lo_u32 v10, s19, v4
	v_mad_u64_u32 v[7:8], null, s18, v4, 0
	v_mul_lo_u32 v11, s18, v9
	v_sub_co_u32 v7, vcc_lo, v5, v7
	v_add3_u32 v8, v8, v11, v10
	v_sub_nc_u32_e32 v10, v6, v8
	v_subrev_co_ci_u32_e64 v10, s0, s19, v10, vcc_lo
	v_add_co_u32 v11, s0, v4, 2
	v_add_co_ci_u32_e64 v12, s0, 0, v9, s0
	v_sub_co_u32 v13, s0, v7, s18
	v_sub_co_ci_u32_e32 v8, vcc_lo, v6, v8, vcc_lo
	v_subrev_co_ci_u32_e64 v10, s0, 0, v10, s0
	v_cmp_le_u32_e32 vcc_lo, s18, v13
	v_cmp_eq_u32_e64 s0, s19, v8
	v_cndmask_b32_e64 v13, 0, -1, vcc_lo
	v_cmp_le_u32_e32 vcc_lo, s19, v10
	v_cndmask_b32_e64 v14, 0, -1, vcc_lo
	v_cmp_le_u32_e32 vcc_lo, s18, v7
	;; [unrolled: 2-line block ×3, first 2 shown]
	v_cndmask_b32_e64 v15, 0, -1, vcc_lo
	v_cmp_eq_u32_e32 vcc_lo, s19, v10
	v_cndmask_b32_e64 v7, v15, v7, s0
	v_cndmask_b32_e32 v10, v14, v13, vcc_lo
	v_add_co_u32 v13, vcc_lo, v4, 1
	v_add_co_ci_u32_e32 v14, vcc_lo, 0, v9, vcc_lo
	v_cmp_ne_u32_e32 vcc_lo, 0, v10
	v_cndmask_b32_e32 v8, v14, v12, vcc_lo
	v_cndmask_b32_e32 v10, v13, v11, vcc_lo
	v_cmp_ne_u32_e32 vcc_lo, 0, v7
	v_cndmask_b32_e32 v8, v9, v8, vcc_lo
	v_cndmask_b32_e32 v7, v4, v10, vcc_lo
.LBB0_4:                                ;   in Loop: Header=BB0_2 Depth=1
	s_andn2_saveexec_b32 s0, s1
	s_cbranch_execz .LBB0_6
; %bb.5:                                ;   in Loop: Header=BB0_2 Depth=1
	v_cvt_f32_u32_e32 v4, s18
	s_sub_i32 s1, 0, s18
	v_rcp_iflag_f32_e32 v4, v4
	v_mul_f32_e32 v4, 0x4f7ffffe, v4
	v_cvt_u32_f32_e32 v4, v4
	v_mul_lo_u32 v7, s1, v4
	v_mul_hi_u32 v7, v4, v7
	v_add_nc_u32_e32 v4, v4, v7
	v_mul_hi_u32 v4, v5, v4
	v_mul_lo_u32 v7, v4, s18
	v_add_nc_u32_e32 v8, 1, v4
	v_sub_nc_u32_e32 v7, v5, v7
	v_subrev_nc_u32_e32 v9, s18, v7
	v_cmp_le_u32_e32 vcc_lo, s18, v7
	v_cndmask_b32_e32 v7, v7, v9, vcc_lo
	v_cndmask_b32_e32 v4, v4, v8, vcc_lo
	v_cmp_le_u32_e32 vcc_lo, s18, v7
	v_add_nc_u32_e32 v8, 1, v4
	v_cndmask_b32_e32 v7, v4, v8, vcc_lo
	v_mov_b32_e32 v8, v3
.LBB0_6:                                ;   in Loop: Header=BB0_2 Depth=1
	s_or_b32 exec_lo, exec_lo, s0
	s_load_dwordx2 s[0:1], s[6:7], 0x0
	v_mul_lo_u32 v4, v8, s18
	v_mul_lo_u32 v11, v7, s19
	v_mad_u64_u32 v[9:10], null, v7, s18, 0
	s_add_u32 s16, s16, 1
	s_addc_u32 s17, s17, 0
	s_add_u32 s6, s6, 8
	s_addc_u32 s7, s7, 0
	;; [unrolled: 2-line block ×3, first 2 shown]
	v_add3_u32 v4, v10, v11, v4
	v_sub_co_u32 v5, vcc_lo, v5, v9
	v_sub_co_ci_u32_e32 v4, vcc_lo, v6, v4, vcc_lo
	s_waitcnt lgkmcnt(0)
	v_mul_lo_u32 v6, s1, v5
	v_mul_lo_u32 v4, s0, v4
	v_mad_u64_u32 v[1:2], null, s0, v5, v[1:2]
	v_cmp_ge_u64_e64 s0, s[16:17], s[10:11]
	s_and_b32 vcc_lo, exec_lo, s0
	v_add3_u32 v2, v6, v2, v4
	s_cbranch_vccnz .LBB0_9
; %bb.7:                                ;   in Loop: Header=BB0_2 Depth=1
	v_mov_b32_e32 v5, v7
	v_mov_b32_e32 v6, v8
	s_branch .LBB0_2
.LBB0_8:
	v_mov_b32_e32 v8, v6
	v_mov_b32_e32 v7, v5
.LBB0_9:
	s_lshl_b64 s[0:1], s[10:11], 3
	v_mul_hi_u32 v5, 0x1f81f82, v0
	s_add_u32 s0, s12, s0
	s_addc_u32 s1, s13, s1
	s_load_dwordx2 s[0:1], s[0:1], 0x0
	s_load_dwordx2 s[4:5], s[4:5], 0x20
	s_waitcnt lgkmcnt(0)
	v_mul_lo_u32 v3, s0, v8
	v_mul_lo_u32 v4, s1, v7
	v_mad_u64_u32 v[1:2], null, s0, v7, v[1:2]
	v_cmp_gt_u64_e32 vcc_lo, s[4:5], v[7:8]
	v_add3_u32 v2, v4, v2, v3
	v_mul_u32_u24_e32 v3, 0x82, v5
	v_lshlrev_b64 v[54:55], 4, v[1:2]
	v_sub_nc_u32_e32 v52, v0, v3
	s_and_saveexec_b32 s1, vcc_lo
	s_cbranch_execz .LBB0_13
; %bb.10:
	v_mov_b32_e32 v53, 0
	v_add_co_u32 v0, s0, s2, v54
	v_add_co_ci_u32_e64 v1, s0, s3, v55, s0
	v_lshlrev_b64 v[2:3], 4, v[52:53]
	v_lshl_add_u32 v42, v52, 4, 0
	s_mov_b32 s4, exec_lo
	v_add_co_u32 v18, s0, v0, v2
	v_add_co_ci_u32_e64 v19, s0, v1, v3, s0
	v_add_co_u32 v6, s0, 0x800, v18
	v_add_co_ci_u32_e64 v7, s0, 0, v19, s0
	;; [unrolled: 2-line block ×10, first 2 shown]
	s_clause 0x9
	global_load_dwordx4 v[2:5], v[18:19], off
	global_load_dwordx4 v[6:9], v[6:7], off offset:32
	global_load_dwordx4 v[10:13], v[10:11], off offset:64
	;; [unrolled: 1-line block ×9, first 2 shown]
	s_waitcnt vmcnt(9)
	ds_write_b128 v42, v[2:5]
	s_waitcnt vmcnt(8)
	ds_write_b128 v42, v[6:9] offset:2080
	s_waitcnt vmcnt(7)
	ds_write_b128 v42, v[10:13] offset:4160
	;; [unrolled: 2-line block ×9, first 2 shown]
	v_cmpx_eq_u32_e32 0x81, v52
	s_cbranch_execz .LBB0_12
; %bb.11:
	v_add_co_u32 v0, s0, 0x5000, v0
	v_add_co_ci_u32_e64 v1, s0, 0, v1, s0
	v_mov_b32_e32 v52, 0x81
	global_load_dwordx4 v[0:3], v[0:1], off offset:320
	s_waitcnt vmcnt(0)
	ds_write_b128 v53, v[0:3] offset:20800
.LBB0_12:
	s_or_b32 exec_lo, exec_lo, s4
.LBB0_13:
	s_or_b32 exec_lo, exec_lo, s1
	v_lshlrev_b32_e32 v0, 4, v52
	s_waitcnt lgkmcnt(0)
	s_barrier
	buffer_gl0_inv
	s_add_u32 s1, s8, 0x50a0
	v_add_nc_u32_e32 v142, 0, v0
	v_sub_nc_u32_e32 v8, 0, v0
	s_addc_u32 s4, s9, 0
	s_mov_b32 s5, exec_lo
	ds_read_b64 v[4:5], v142
	ds_read_b64 v[6:7], v8 offset:20800
	s_waitcnt lgkmcnt(0)
	v_add_f64 v[0:1], v[4:5], v[6:7]
	v_add_f64 v[2:3], v[4:5], -v[6:7]
	v_cmpx_ne_u32_e32 0, v52
	s_xor_b32 s5, exec_lo, s5
	s_cbranch_execz .LBB0_15
; %bb.14:
	v_mov_b32_e32 v53, 0
	v_add_f64 v[13:14], v[4:5], v[6:7]
	v_add_f64 v[15:16], v[4:5], -v[6:7]
	v_lshlrev_b64 v[0:1], 4, v[52:53]
	v_add_co_u32 v0, s0, s1, v0
	v_add_co_ci_u32_e64 v1, s0, s4, v1, s0
	global_load_dwordx4 v[9:12], v[0:1], off
	ds_read_b64 v[0:1], v8 offset:20808
	ds_read_b64 v[2:3], v142 offset:8
	s_waitcnt lgkmcnt(0)
	v_add_f64 v[4:5], v[0:1], v[2:3]
	v_add_f64 v[0:1], v[2:3], -v[0:1]
	s_waitcnt vmcnt(0)
	v_fma_f64 v[2:3], v[15:16], v[11:12], v[13:14]
	v_fma_f64 v[6:7], -v[15:16], v[11:12], v[13:14]
	v_fma_f64 v[13:14], v[4:5], v[11:12], -v[0:1]
	v_fma_f64 v[11:12], v[4:5], v[11:12], v[0:1]
	v_fma_f64 v[0:1], -v[4:5], v[9:10], v[2:3]
	v_fma_f64 v[4:5], v[4:5], v[9:10], v[6:7]
	v_fma_f64 v[6:7], v[15:16], v[9:10], v[13:14]
	;; [unrolled: 1-line block ×3, first 2 shown]
	ds_write_b128 v8, v[4:7] offset:20800
.LBB0_15:
	s_andn2_saveexec_b32 s0, s5
	s_cbranch_execz .LBB0_17
; %bb.16:
	v_mov_b32_e32 v9, 0
	ds_read_b128 v[4:7], v9 offset:10400
	s_waitcnt lgkmcnt(0)
	v_add_f64 v[4:5], v[4:5], v[4:5]
	v_mul_f64 v[6:7], v[6:7], -2.0
	ds_write_b128 v9, v[4:7] offset:10400
.LBB0_17:
	s_or_b32 exec_lo, exec_lo, s0
	v_add_nc_u32_e32 v17, 0x82, v52
	v_mov_b32_e32 v18, 0
	ds_write_b128 v142, v[0:3]
	v_and_b32_e32 v48, 0xff, v52
	s_mov_b32 s5, 0xbfee6f0e
	s_mov_b32 s10, 0x4755a5e
	v_lshlrev_b64 v[4:5], 4, v[17:18]
	v_add_nc_u32_e32 v17, 0x104, v52
	v_mul_lo_u16 v53, 0xcd, v48
	s_mov_b32 s11, 0x3fe2cf23
	s_mov_b32 s7, 0xbfe2cf23
	;; [unrolled: 1-line block ×3, first 2 shown]
	v_add_co_u32 v4, s0, s1, v4
	v_add_co_ci_u32_e64 v5, s0, s4, v5, s0
	v_lshlrev_b64 v[9:10], 4, v[17:18]
	v_add_nc_u32_e32 v17, 0x186, v52
	s_mov_b32 s12, 0x372fe950
	global_load_dwordx4 v[4:7], v[4:5], off
	s_mov_b32 s13, 0x3fd3c6ef
	s_mov_b32 s14, 0x9b97f4a8
	v_add_co_u32 v9, s0, s1, v9
	v_add_co_ci_u32_e64 v10, s0, s4, v10, s0
	v_lshlrev_b64 v[13:14], 4, v[17:18]
	v_add_nc_u32_e32 v17, 0x208, v52
	s_mov_b32 s15, 0x3fe9e377
	global_load_dwordx4 v[9:12], v[9:10], off
	v_add_co_u32 v13, s0, s1, v13
	v_add_co_ci_u32_e64 v14, s0, s4, v14, s0
	v_lshlrev_b64 v[17:18], 4, v[17:18]
	global_load_dwordx4 v[13:16], v[13:14], off
	v_add_co_u32 v21, s0, s1, v17
	v_add_co_ci_u32_e64 v22, s0, s4, v18, s0
	ds_read_b128 v[0:3], v142 offset:2080
	ds_read_b128 v[17:20], v8 offset:18720
	s_mov_b32 s0, 0x134454ff
	s_mov_b32 s1, 0x3fee6f0e
	global_load_dwordx4 v[21:24], v[21:22], off
	s_mov_b32 s4, s0
	s_waitcnt lgkmcnt(0)
	v_add_f64 v[25:26], v[0:1], v[17:18]
	v_add_f64 v[27:28], v[19:20], v[2:3]
	v_add_f64 v[29:30], v[0:1], -v[17:18]
	v_add_f64 v[0:1], v[2:3], -v[19:20]
	s_waitcnt vmcnt(3)
	v_fma_f64 v[2:3], v[29:30], v[6:7], v[25:26]
	v_fma_f64 v[17:18], v[27:28], v[6:7], v[0:1]
	v_fma_f64 v[19:20], -v[29:30], v[6:7], v[25:26]
	v_fma_f64 v[6:7], v[27:28], v[6:7], -v[0:1]
	v_fma_f64 v[0:1], -v[27:28], v[4:5], v[2:3]
	v_fma_f64 v[2:3], v[29:30], v[4:5], v[17:18]
	v_fma_f64 v[17:18], v[27:28], v[4:5], v[19:20]
	v_fma_f64 v[19:20], v[29:30], v[4:5], v[6:7]
	ds_write_b128 v142, v[0:3] offset:2080
	ds_write_b128 v8, v[17:20] offset:18720
	ds_read_b128 v[0:3], v142 offset:4160
	ds_read_b128 v[4:7], v8 offset:16640
	s_waitcnt lgkmcnt(0)
	v_add_f64 v[17:18], v[0:1], v[4:5]
	v_add_f64 v[19:20], v[6:7], v[2:3]
	v_add_f64 v[25:26], v[0:1], -v[4:5]
	v_add_f64 v[0:1], v[2:3], -v[6:7]
	s_waitcnt vmcnt(2)
	v_fma_f64 v[2:3], v[25:26], v[11:12], v[17:18]
	v_fma_f64 v[4:5], v[19:20], v[11:12], v[0:1]
	v_fma_f64 v[6:7], -v[25:26], v[11:12], v[17:18]
	v_fma_f64 v[11:12], v[19:20], v[11:12], -v[0:1]
	v_fma_f64 v[0:1], -v[19:20], v[9:10], v[2:3]
	v_fma_f64 v[2:3], v[25:26], v[9:10], v[4:5]
	v_fma_f64 v[4:5], v[19:20], v[9:10], v[6:7]
	v_fma_f64 v[6:7], v[25:26], v[9:10], v[11:12]
	ds_write_b128 v142, v[0:3] offset:4160
	ds_write_b128 v8, v[4:7] offset:16640
	ds_read_b128 v[0:3], v142 offset:6240
	ds_read_b128 v[4:7], v8 offset:14560
	s_waitcnt lgkmcnt(0)
	v_add_f64 v[9:10], v[0:1], v[4:5]
	v_add_f64 v[11:12], v[6:7], v[2:3]
	v_add_f64 v[17:18], v[0:1], -v[4:5]
	v_add_f64 v[0:1], v[2:3], -v[6:7]
	s_waitcnt vmcnt(1)
	v_fma_f64 v[2:3], v[17:18], v[15:16], v[9:10]
	v_fma_f64 v[4:5], v[11:12], v[15:16], v[0:1]
	v_fma_f64 v[6:7], -v[17:18], v[15:16], v[9:10]
	v_fma_f64 v[9:10], v[11:12], v[15:16], -v[0:1]
	v_fma_f64 v[0:1], -v[11:12], v[13:14], v[2:3]
	v_fma_f64 v[2:3], v[17:18], v[13:14], v[4:5]
	v_fma_f64 v[4:5], v[11:12], v[13:14], v[6:7]
	v_fma_f64 v[6:7], v[17:18], v[13:14], v[9:10]
	ds_write_b128 v142, v[0:3] offset:6240
	ds_write_b128 v8, v[4:7] offset:14560
	ds_read_b128 v[0:3], v142 offset:8320
	ds_read_b128 v[4:7], v8 offset:12480
	s_waitcnt lgkmcnt(0)
	v_add_f64 v[9:10], v[0:1], v[4:5]
	v_add_f64 v[11:12], v[6:7], v[2:3]
	v_add_f64 v[13:14], v[0:1], -v[4:5]
	v_add_f64 v[0:1], v[2:3], -v[6:7]
	s_waitcnt vmcnt(0)
	v_fma_f64 v[2:3], v[13:14], v[23:24], v[9:10]
	v_fma_f64 v[4:5], v[11:12], v[23:24], v[0:1]
	v_fma_f64 v[6:7], -v[13:14], v[23:24], v[9:10]
	v_fma_f64 v[9:10], v[11:12], v[23:24], -v[0:1]
	v_fma_f64 v[0:1], -v[11:12], v[21:22], v[2:3]
	v_fma_f64 v[2:3], v[13:14], v[21:22], v[4:5]
	v_fma_f64 v[4:5], v[11:12], v[21:22], v[6:7]
	;; [unrolled: 1-line block ×3, first 2 shown]
	ds_write_b128 v142, v[0:3] offset:8320
	ds_write_b128 v8, v[4:7] offset:12480
	s_waitcnt lgkmcnt(0)
	s_barrier
	buffer_gl0_inv
	s_barrier
	buffer_gl0_inv
	ds_read_b128 v[24:27], v142 offset:6240
	ds_read_b128 v[16:19], v142 offset:10400
	;; [unrolled: 1-line block ×8, first 2 shown]
	ds_read_b128 v[32:35], v142
	ds_read_b128 v[36:39], v142 offset:2080
	s_waitcnt lgkmcnt(0)
	s_barrier
	buffer_gl0_inv
	v_add_f64 v[82:83], v[24:25], -v[16:17]
	v_add_f64 v[40:41], v[16:17], v[8:9]
	v_add_f64 v[42:43], v[26:27], v[2:3]
	;; [unrolled: 1-line block ×4, first 2 shown]
	v_add_f64 v[62:63], v[26:27], -v[2:3]
	v_add_f64 v[58:59], v[18:19], -v[10:11]
	;; [unrolled: 1-line block ×4, first 2 shown]
	v_add_f64 v[48:49], v[20:21], v[12:13]
	v_add_f64 v[50:51], v[28:29], v[4:5]
	v_add_f64 v[56:57], v[22:23], v[14:15]
	v_add_f64 v[84:85], v[16:17], -v[24:25]
	v_add_f64 v[86:87], v[18:19], -v[26:27]
	;; [unrolled: 1-line block ×5, first 2 shown]
	v_add_f64 v[64:65], v[30:31], v[6:7]
	v_add_f64 v[104:105], v[26:27], -v[18:19]
	v_add_f64 v[106:107], v[2:3], -v[10:11]
	v_add_f64 v[66:67], v[32:33], v[28:29]
	v_add_f64 v[68:69], v[34:35], v[30:31]
	;; [unrolled: 1-line block ×3, first 2 shown]
	v_fma_f64 v[40:41], v[40:41], -0.5, v[36:37]
	v_fma_f64 v[42:43], v[42:43], -0.5, v[38:39]
	;; [unrolled: 1-line block ×4, first 2 shown]
	v_add_f64 v[26:27], v[38:39], v[26:27]
	v_add_f64 v[70:71], v[30:31], -v[6:7]
	v_add_f64 v[72:73], v[28:29], -v[20:21]
	;; [unrolled: 1-line block ×5, first 2 shown]
	v_fma_f64 v[48:49], v[48:49], -0.5, v[32:33]
	v_fma_f64 v[32:33], v[50:51], -0.5, v[32:33]
	;; [unrolled: 1-line block ×3, first 2 shown]
	v_add_f64 v[56:57], v[82:83], v[88:89]
	v_add_f64 v[82:83], v[84:85], v[90:91]
	;; [unrolled: 1-line block ×3, first 2 shown]
	v_add_f64 v[94:95], v[20:21], -v[12:13]
	v_add_f64 v[102:103], v[4:5], -v[12:13]
	;; [unrolled: 1-line block ×3, first 2 shown]
	v_fma_f64 v[34:35], v[64:65], -0.5, v[34:35]
	v_add_f64 v[64:65], v[104:105], v[106:107]
	v_add_f64 v[78:79], v[30:31], -v[22:23]
	v_fma_f64 v[96:97], v[62:63], s[0:1], v[40:41]
	v_fma_f64 v[98:99], v[60:61], s[0:1], v[42:43]
	v_fma_f64 v[100:101], v[58:59], s[0:1], v[44:45]
	v_fma_f64 v[44:45], v[58:59], s[4:5], v[44:45]
	v_fma_f64 v[40:41], v[62:63], s[4:5], v[40:41]
	v_fma_f64 v[42:43], v[60:61], s[4:5], v[42:43]
	v_fma_f64 v[108:109], v[74:75], s[0:1], v[46:47]
	v_fma_f64 v[46:47], v[74:75], s[4:5], v[46:47]
	v_add_f64 v[30:31], v[22:23], -v[30:31]
	v_add_f64 v[20:21], v[66:67], v[20:21]
	v_add_f64 v[22:23], v[68:69], v[22:23]
	;; [unrolled: 1-line block ×4, first 2 shown]
	v_add_f64 v[36:37], v[6:7], -v[14:15]
	v_add_f64 v[38:39], v[14:15], -v[6:7]
	v_fma_f64 v[66:67], v[80:81], s[4:5], v[32:33]
	v_fma_f64 v[68:69], v[28:29], s[4:5], v[50:51]
	;; [unrolled: 1-line block ×3, first 2 shown]
	v_add_f64 v[24:25], v[72:73], v[102:103]
	v_add_f64 v[26:27], v[76:77], v[110:111]
	v_fma_f64 v[76:77], v[94:95], s[0:1], v[34:35]
	v_fma_f64 v[32:33], v[80:81], s[0:1], v[32:33]
	;; [unrolled: 1-line block ×13, first 2 shown]
	v_add_f64 v[12:13], v[20:21], v[12:13]
	v_add_f64 v[14:15], v[22:23], v[14:15]
	;; [unrolled: 1-line block ×6, first 2 shown]
	v_fma_f64 v[22:23], v[70:71], s[10:11], v[66:67]
	v_fma_f64 v[38:39], v[94:95], s[6:7], v[68:69]
	v_lshrrev_b16 v8, 11, v53
	v_mov_b32_e32 v53, 9
	v_fma_f64 v[32:33], v[70:71], s[6:7], v[32:33]
	v_fma_f64 v[60:61], v[56:57], s[12:13], v[86:87]
	;; [unrolled: 1-line block ×14, first 2 shown]
	v_add_f64 v[4:5], v[12:13], v[4:5]
	v_add_f64 v[6:7], v[14:15], v[6:7]
	;; [unrolled: 1-line block ×4, first 2 shown]
	v_fma_f64 v[78:79], v[26:27], s[12:13], v[22:23]
	v_mul_lo_u16 v0, v8, 10
	v_fma_f64 v[32:33], v[26:27], s[12:13], v[32:33]
	v_mul_f64 v[50:51], v[60:61], s[14:15]
	v_mul_f64 v[60:61], v[60:61], s[6:7]
	;; [unrolled: 1-line block ×8, first 2 shown]
	v_fma_f64 v[16:17], v[24:25], s[12:13], v[18:19]
	v_fma_f64 v[76:77], v[24:25], s[12:13], v[20:21]
	;; [unrolled: 1-line block ×4, first 2 shown]
	v_sub_nc_u16 v9, v52, v0
	v_add_f64 v[0:1], v[4:5], v[11:12]
	v_add_f64 v[2:3], v[6:7], v[13:14]
	v_add_f64 v[4:5], v[4:5], -v[11:12]
	v_add_f64 v[6:7], v[6:7], -v[13:14]
	v_fma_f64 v[22:23], v[46:47], s[10:11], v[50:51]
	v_fma_f64 v[24:25], v[46:47], s[14:15], v[60:61]
	;; [unrolled: 1-line block ×3, first 2 shown]
	v_fma_f64 v[38:39], v[42:43], s[0:1], -v[62:63]
	v_fma_f64 v[42:43], v[30:31], s[12:13], v[64:65]
	v_fma_f64 v[50:51], v[72:73], s[12:13], v[66:67]
	;; [unrolled: 1-line block ×3, first 2 shown]
	v_fma_f64 v[46:47], v[56:57], s[10:11], -v[34:35]
	v_fma_f64 v[56:57], v[74:75], s[4:5], -v[68:69]
	;; [unrolled: 1-line block ×3, first 2 shown]
	v_add_f64 v[10:11], v[16:17], v[22:23]
	v_add_f64 v[12:13], v[20:21], v[24:25]
	;; [unrolled: 1-line block ×3, first 2 shown]
	v_add_f64 v[22:23], v[16:17], -v[22:23]
	v_add_f64 v[18:19], v[32:33], v[38:39]
	v_add_f64 v[16:17], v[42:43], v[50:51]
	v_add_f64 v[24:25], v[20:21], -v[24:25]
	v_add_f64 v[26:27], v[76:77], v[46:47]
	v_add_f64 v[20:21], v[44:45], v[56:57]
	;; [unrolled: 1-line block ×3, first 2 shown]
	v_add_f64 v[30:31], v[78:79], -v[36:37]
	v_add_f64 v[34:35], v[32:33], -v[38:39]
	;; [unrolled: 1-line block ×6, first 2 shown]
	v_mul_u32_u24_sdwa v42, v9, v53 dst_sel:DWORD dst_unused:UNUSED_PAD src0_sel:BYTE_0 src1_sel:DWORD
	v_mad_u32_u24 v43, 0x90, v52, v142
	ds_write_b128 v43, v[0:3]
	ds_write_b128 v43, v[4:7] offset:80
	ds_write_b128 v43, v[10:13] offset:16
	;; [unrolled: 1-line block ×9, first 2 shown]
	v_lshlrev_b32_e32 v42, 4, v42
	s_waitcnt lgkmcnt(0)
	s_barrier
	buffer_gl0_inv
	s_clause 0x8
	global_load_dwordx4 v[0:3], v42, s[8:9] offset:32
	global_load_dwordx4 v[4:7], v42, s[8:9] offset:64
	global_load_dwordx4 v[10:13], v42, s[8:9] offset:96
	global_load_dwordx4 v[14:17], v42, s[8:9] offset:128
	global_load_dwordx4 v[18:21], v42, s[8:9]
	global_load_dwordx4 v[22:25], v42, s[8:9] offset:16
	global_load_dwordx4 v[26:29], v42, s[8:9] offset:48
	;; [unrolled: 1-line block ×4, first 2 shown]
	ds_read_b128 v[38:41], v142 offset:6240
	ds_read_b128 v[42:45], v142 offset:10400
	;; [unrolled: 1-line block ×9, first 2 shown]
	ds_read_b128 v[80:83], v142
	v_mov_b32_e32 v53, 0x640
	s_waitcnt vmcnt(0) lgkmcnt(0)
	s_barrier
	buffer_gl0_inv
	v_mul_u32_u24_sdwa v8, v8, v53 dst_sel:DWORD dst_unused:UNUSED_PAD src0_sel:WORD_0 src1_sel:DWORD
	v_mul_f64 v[50:51], v[40:41], v[2:3]
	v_mul_f64 v[2:3], v[38:39], v[2:3]
	;; [unrolled: 1-line block ×16, first 2 shown]
	v_fma_f64 v[38:39], v[38:39], v[0:1], -v[50:51]
	v_fma_f64 v[0:1], v[40:41], v[0:1], v[2:3]
	v_fma_f64 v[2:3], v[42:43], v[4:5], -v[84:85]
	v_fma_f64 v[4:5], v[44:45], v[4:5], v[6:7]
	v_fma_f64 v[6:7], v[48:49], v[10:11], v[86:87]
	;; [unrolled: 1-line block ×3, first 2 shown]
	v_fma_f64 v[14:15], v[56:57], v[14:15], -v[16:17]
	v_fma_f64 v[10:11], v[46:47], v[10:11], -v[12:13]
	v_mul_f64 v[12:13], v[72:73], v[32:33]
	v_mul_f64 v[16:17], v[76:77], v[36:37]
	v_fma_f64 v[32:33], v[64:65], v[22:23], -v[92:93]
	v_fma_f64 v[46:47], v[60:61], v[18:19], -v[90:91]
	;; [unrolled: 1-line block ×3, first 2 shown]
	v_fma_f64 v[18:19], v[62:63], v[18:19], v[20:21]
	v_fma_f64 v[20:21], v[66:67], v[22:23], v[24:25]
	v_fma_f64 v[22:23], v[70:71], v[26:27], v[28:29]
	v_fma_f64 v[42:43], v[72:73], v[30:31], -v[96:97]
	v_fma_f64 v[44:45], v[76:77], v[34:35], -v[98:99]
	v_add_f64 v[86:87], v[38:39], -v[2:3]
	v_add_f64 v[90:91], v[2:3], -v[38:39]
	v_add_f64 v[24:25], v[4:5], v[6:7]
	v_add_f64 v[26:27], v[0:1], v[40:41]
	;; [unrolled: 1-line block ×4, first 2 shown]
	v_fma_f64 v[12:13], v[74:75], v[30:31], v[12:13]
	v_fma_f64 v[16:17], v[78:79], v[34:35], v[16:17]
	v_add_f64 v[50:51], v[2:3], -v[10:11]
	v_add_f64 v[56:57], v[4:5], -v[6:7]
	;; [unrolled: 1-line block ×6, first 2 shown]
	v_add_f64 v[30:31], v[36:37], v[42:43]
	v_add_f64 v[34:35], v[32:33], v[44:45]
	v_add_f64 v[94:95], v[0:1], -v[4:5]
	v_add_f64 v[96:97], v[40:41], -v[6:7]
	;; [unrolled: 1-line block ×6, first 2 shown]
	v_add_f64 v[70:71], v[80:81], v[32:33]
	v_add_f64 v[72:73], v[82:83], v[20:21]
	v_fma_f64 v[24:25], v[24:25], -0.5, v[18:19]
	v_fma_f64 v[26:27], v[26:27], -0.5, v[18:19]
	;; [unrolled: 1-line block ×4, first 2 shown]
	v_add_f64 v[62:63], v[22:23], v[12:13]
	v_add_f64 v[64:65], v[20:21], v[16:17]
	v_add_f64 v[74:75], v[36:37], -v[32:33]
	v_add_f64 v[78:79], v[20:21], -v[22:23]
	;; [unrolled: 1-line block ×5, first 2 shown]
	v_add_f64 v[38:39], v[46:47], v[38:39]
	v_add_f64 v[0:1], v[18:19], v[0:1]
	v_add_f64 v[18:19], v[32:33], -v[44:45]
	v_add_f64 v[20:21], v[20:21], -v[16:17]
	v_fma_f64 v[30:31], v[30:31], -0.5, v[80:81]
	v_fma_f64 v[32:33], v[34:35], -0.5, v[80:81]
	v_add_f64 v[46:47], v[86:87], v[88:89]
	v_add_f64 v[80:81], v[94:95], v[96:97]
	;; [unrolled: 1-line block ×3, first 2 shown]
	v_add_f64 v[76:77], v[42:43], -v[44:45]
	v_add_f64 v[84:85], v[16:17], -v[12:13]
	v_fma_f64 v[102:103], v[58:59], s[4:5], v[24:25]
	v_fma_f64 v[104:105], v[50:51], s[0:1], v[26:27]
	;; [unrolled: 1-line block ×8, first 2 shown]
	v_fma_f64 v[34:35], v[62:63], -0.5, v[82:83]
	v_add_f64 v[62:63], v[90:91], v[92:93]
	v_fma_f64 v[64:65], v[64:65], -0.5, v[82:83]
	v_add_f64 v[82:83], v[12:13], -v[16:17]
	v_add_f64 v[36:37], v[70:71], v[36:37]
	v_add_f64 v[22:23], v[72:73], v[22:23]
	;; [unrolled: 1-line block ×4, first 2 shown]
	v_fma_f64 v[4:5], v[20:21], s[0:1], v[30:31]
	v_fma_f64 v[30:31], v[20:21], s[4:5], v[30:31]
	;; [unrolled: 1-line block ×12, first 2 shown]
	v_add_f64 v[50:51], v[66:67], v[68:69]
	v_fma_f64 v[58:59], v[18:19], s[4:5], v[34:35]
	v_fma_f64 v[34:35], v[18:19], s[0:1], v[34:35]
	;; [unrolled: 1-line block ×4, first 2 shown]
	v_add_f64 v[56:57], v[74:75], v[76:77]
	v_add_f64 v[36:37], v[36:37], v[42:43]
	;; [unrolled: 1-line block ×5, first 2 shown]
	v_fma_f64 v[4:5], v[114:115], s[10:11], v[4:5]
	v_fma_f64 v[6:7], v[114:115], s[6:7], v[30:31]
	;; [unrolled: 1-line block ×12, first 2 shown]
	v_add_f64 v[48:49], v[78:79], v[84:85]
	v_add_f64 v[62:63], v[110:111], v[82:83]
	v_fma_f64 v[22:23], v[112:113], s[6:7], v[58:59]
	v_fma_f64 v[30:31], v[112:113], s[10:11], v[34:35]
	;; [unrolled: 1-line block ×4, first 2 shown]
	v_add_f64 v[36:37], v[36:37], v[44:45]
	v_add_f64 v[12:13], v[12:13], v[16:17]
	;; [unrolled: 1-line block ×4, first 2 shown]
	v_fma_f64 v[40:41], v[50:51], s[12:13], v[4:5]
	v_fma_f64 v[50:51], v[50:51], s[12:13], v[6:7]
	v_fma_f64 v[10:11], v[56:57], s[12:13], v[10:11]
	v_fma_f64 v[20:21], v[56:57], s[12:13], v[20:21]
	v_mul_f64 v[32:33], v[60:61], s[10:11]
	v_mul_f64 v[34:35], v[66:67], s[0:1]
	;; [unrolled: 1-line block ×8, first 2 shown]
	v_fma_f64 v[6:7], v[48:49], s[12:13], v[22:23]
	v_fma_f64 v[22:23], v[48:49], s[12:13], v[30:31]
	v_add_f64 v[0:1], v[36:37], v[14:15]
	v_add_f64 v[2:3], v[12:13], v[16:17]
	v_add_f64 v[36:37], v[36:37], -v[14:15]
	v_fma_f64 v[30:31], v[70:71], s[14:15], v[32:33]
	v_fma_f64 v[28:29], v[28:29], s[12:13], v[34:35]
	v_fma_f64 v[32:33], v[26:27], s[0:1], -v[38:39]
	v_fma_f64 v[26:27], v[60:61], s[14:15], v[42:43]
	v_fma_f64 v[34:35], v[62:63], s[12:13], v[58:59]
	;; [unrolled: 1-line block ×3, first 2 shown]
	v_fma_f64 v[56:57], v[24:25], s[10:11], -v[64:65]
	v_fma_f64 v[58:59], v[66:67], s[12:13], v[72:73]
	v_fma_f64 v[60:61], v[68:69], s[4:5], -v[74:75]
	v_fma_f64 v[62:63], v[46:47], s[6:7], -v[76:77]
	v_add_f64 v[38:39], v[12:13], -v[16:17]
	v_mov_b32_e32 v64, 4
	v_cmp_gt_u32_e64 s0, 0x64, v52
	v_lshlrev_b32_sdwa v9, v64, v9 dst_sel:DWORD dst_unused:UNUSED_PAD src0_sel:DWORD src1_sel:BYTE_0
	v_add3_u32 v8, 0, v8, v9
	v_add_f64 v[16:17], v[40:41], v[30:31]
	v_add_f64 v[4:5], v[10:11], v[28:29]
	;; [unrolled: 1-line block ×4, first 2 shown]
	v_add_f64 v[44:45], v[40:41], -v[30:31]
	v_add_f64 v[46:47], v[6:7], -v[26:27]
	v_add_f64 v[24:25], v[50:51], v[56:57]
	v_add_f64 v[6:7], v[34:35], v[58:59]
	;; [unrolled: 1-line block ×4, first 2 shown]
	v_add_f64 v[48:49], v[10:11], -v[28:29]
	v_add_f64 v[40:41], v[20:21], -v[32:33]
	;; [unrolled: 1-line block ×6, first 2 shown]
	ds_write_b128 v8, v[0:3]
	ds_write_b128 v8, v[36:39] offset:800
	ds_write_b128 v8, v[16:19] offset:160
	;; [unrolled: 1-line block ×9, first 2 shown]
	s_waitcnt lgkmcnt(0)
	s_barrier
	buffer_gl0_inv
                                        ; implicit-def: $vgpr34_vgpr35
                                        ; implicit-def: $vgpr10_vgpr11
                                        ; implicit-def: $vgpr30_vgpr31
	s_and_saveexec_b32 s1, s0
	s_cbranch_execz .LBB0_19
; %bb.18:
	ds_read_b128 v[0:3], v142
	ds_read_b128 v[16:19], v142 offset:1600
	ds_read_b128 v[4:7], v142 offset:3200
	;; [unrolled: 1-line block ×12, first 2 shown]
.LBB0_19:
	s_or_b32 exec_lo, exec_lo, s1
	s_waitcnt lgkmcnt(0)
	s_barrier
	buffer_gl0_inv
	s_and_saveexec_b32 s33, s0
	s_cbranch_execz .LBB0_21
; %bb.20:
	v_add_nc_u32_e32 v53, 0xffffff9c, v52
	v_mov_b32_e32 v57, 0
	s_mov_b32 s16, 0x1ea71119
	s_mov_b32 s4, 0xd0032e0c
	;; [unrolled: 1-line block ×3, first 2 shown]
	v_cndmask_b32_e64 v53, v53, v52, s0
	s_mov_b32 s6, 0x93053d00
	s_mov_b32 s17, 0x3fe22d96
	;; [unrolled: 1-line block ×4, first 2 shown]
	v_mul_i32_i24_e32 v56, 12, v53
	s_mov_b32 s7, 0xbfef11f4
	s_mov_b32 s22, 0x66966769
	;; [unrolled: 1-line block ×4, first 2 shown]
	v_lshlrev_b64 v[56:57], 4, v[56:57]
	s_mov_b32 s12, 0x24c2f84
	s_mov_b32 s26, 0x4267c47c
	;; [unrolled: 1-line block ×5, first 2 shown]
	v_add_co_u32 v76, s0, s8, v56
	v_add_co_ci_u32_e64 v77, s0, s9, v57, s0
	s_mov_b32 s8, 0xebaa3ed8
	s_mov_b32 s0, 0xb2365da1
	s_mov_b32 s9, 0x3fbedb7d
	s_clause 0x1
	global_load_dwordx4 v[58:61], v[76:77], off offset:1520
	global_load_dwordx4 v[62:65], v[76:77], off offset:1504
	s_mov_b32 s1, 0xbfd6b1d8
	s_mov_b32 s31, 0xbfea55e2
	;; [unrolled: 1-line block ×17, first 2 shown]
	s_waitcnt vmcnt(1)
	v_mul_f64 v[56:57], v[44:45], v[60:61]
	v_fma_f64 v[56:57], v[46:47], v[58:59], v[56:57]
	v_mul_f64 v[46:47], v[46:47], v[60:61]
	v_fma_f64 v[44:45], v[44:45], v[58:59], -v[46:47]
	s_clause 0x1
	global_load_dwordx4 v[58:61], v[76:77], off offset:1536
	global_load_dwordx4 v[66:69], v[76:77], off offset:1552
	s_waitcnt vmcnt(1)
	v_mul_f64 v[46:47], v[48:49], v[60:61]
	v_fma_f64 v[46:47], v[50:51], v[58:59], v[46:47]
	v_mul_f64 v[50:51], v[50:51], v[60:61]
	v_add_f64 v[132:133], v[56:57], v[46:47]
	v_fma_f64 v[48:49], v[48:49], v[58:59], -v[50:51]
	v_mul_f64 v[50:51], v[36:37], v[64:65]
	v_add_f64 v[134:135], v[56:57], -v[46:47]
	v_mul_f64 v[159:160], v[132:133], s[8:9]
	v_fma_f64 v[50:51], v[38:39], v[62:63], v[50:51]
	v_mul_f64 v[38:39], v[38:39], v[64:65]
	v_mul_f64 v[161:162], v[134:135], s[18:19]
	v_fma_f64 v[36:37], v[36:37], v[62:63], -v[38:39]
	s_waitcnt vmcnt(0)
	v_mul_f64 v[38:39], v[40:41], v[68:69]
	v_fma_f64 v[38:39], v[42:43], v[66:67], v[38:39]
	v_mul_f64 v[42:43], v[42:43], v[68:69]
	s_clause 0x1
	global_load_dwordx4 v[58:61], v[76:77], off offset:1488
	global_load_dwordx4 v[68:71], v[76:77], off offset:1472
	v_add_f64 v[128:129], v[50:51], v[38:39]
	v_fma_f64 v[40:41], v[40:41], v[66:67], -v[42:43]
	v_add_f64 v[130:131], v[50:51], -v[38:39]
	v_mul_f64 v[153:154], v[128:129], s[0:1]
	v_mul_f64 v[155:156], v[130:131], s[34:35]
	s_waitcnt vmcnt(1)
	v_mul_f64 v[42:43], v[24:25], v[60:61]
	v_fma_f64 v[42:43], v[26:27], v[58:59], v[42:43]
	v_mul_f64 v[26:27], v[26:27], v[60:61]
	v_fma_f64 v[58:59], v[24:25], v[58:59], -v[26:27]
	s_clause 0x1
	global_load_dwordx4 v[60:63], v[76:77], off offset:1440
	global_load_dwordx4 v[24:27], v[76:77], off offset:1456
	s_waitcnt vmcnt(1)
	v_mul_f64 v[64:65], v[16:17], v[62:63]
	v_fma_f64 v[64:65], v[18:19], v[60:61], v[64:65]
	v_mul_f64 v[18:19], v[18:19], v[62:63]
	v_fma_f64 v[66:67], v[16:17], v[60:61], -v[18:19]
	s_clause 0x1
	global_load_dwordx4 v[60:63], v[76:77], off offset:1616
	global_load_dwordx4 v[72:75], v[76:77], off offset:1600
	s_waitcnt vmcnt(1)
	v_mul_f64 v[16:17], v[32:33], v[62:63]
	v_mul_f64 v[18:19], v[34:35], v[62:63]
	v_fma_f64 v[16:17], v[34:35], v[60:61], v[16:17]
	v_fma_f64 v[18:19], v[32:33], v[60:61], -v[18:19]
	s_clause 0x1
	global_load_dwordx4 v[60:63], v[76:77], off offset:1568
	global_load_dwordx4 v[76:79], v[76:77], off offset:1584
	v_add_f64 v[88:89], v[66:67], v[18:19]
	s_waitcnt vmcnt(1)
	v_mul_f64 v[32:33], v[20:21], v[62:63]
	v_fma_f64 v[32:33], v[22:23], v[60:61], v[32:33]
	v_mul_f64 v[22:23], v[22:23], v[62:63]
	v_add_f64 v[124:125], v[42:43], v[32:33]
	v_fma_f64 v[20:21], v[20:21], v[60:61], -v[22:23]
	v_mul_f64 v[22:23], v[12:13], v[70:71]
	v_add_f64 v[126:127], v[42:43], -v[32:33]
	v_fma_f64 v[22:23], v[14:15], v[68:69], v[22:23]
	v_mul_f64 v[14:15], v[14:15], v[70:71]
	v_mul_f64 v[151:152], v[126:127], s[20:21]
	v_fma_f64 v[34:35], v[12:13], v[68:69], -v[14:15]
	s_waitcnt vmcnt(0)
	v_mul_f64 v[12:13], v[28:29], v[78:79]
	v_add_f64 v[68:69], v[66:67], -v[18:19]
	v_fma_f64 v[60:61], v[30:31], v[76:77], v[12:13]
	v_mul_f64 v[12:13], v[30:31], v[78:79]
	v_add_f64 v[120:121], v[22:23], v[60:61]
	v_fma_f64 v[28:29], v[28:29], v[76:77], -v[12:13]
	v_mul_f64 v[12:13], v[4:5], v[26:27]
	v_add_f64 v[122:123], v[22:23], -v[60:61]
	v_fma_f64 v[30:31], v[6:7], v[24:25], v[12:13]
	v_mul_f64 v[6:7], v[6:7], v[26:27]
	v_fma_f64 v[62:63], v[4:5], v[24:25], -v[6:7]
	v_mul_f64 v[4:5], v[8:9], v[74:75]
	v_fma_f64 v[24:25], v[10:11], v[72:73], v[4:5]
	v_mul_f64 v[4:5], v[10:11], v[74:75]
	v_fma_f64 v[26:27], v[8:9], v[72:73], -v[4:5]
	v_add_f64 v[4:5], v[64:65], v[16:17]
	v_mul_f64 v[6:7], v[4:5], s[6:7]
	v_mul_f64 v[8:9], v[4:5], s[4:5]
	;; [unrolled: 1-line block ×6, first 2 shown]
	v_fma_f64 v[72:73], v[68:69], s[14:15], v[6:7]
	v_fma_f64 v[6:7], v[68:69], s[36:37], v[6:7]
	;; [unrolled: 1-line block ×12, first 2 shown]
	v_add_f64 v[68:69], v[64:65], -v[16:17]
	v_add_f64 v[116:117], v[2:3], v[72:73]
	v_add_f64 v[72:73], v[62:63], -v[26:27]
	v_add_f64 v[143:144], v[2:3], v[74:75]
	v_add_f64 v[147:148], v[2:3], v[8:9]
	;; [unrolled: 1-line block ×6, first 2 shown]
	v_mul_f64 v[82:83], v[68:69], s[34:35]
	v_mul_f64 v[70:71], v[68:69], s[36:37]
	;; [unrolled: 1-line block ×6, first 2 shown]
	v_fma_f64 v[100:101], v[88:89], s[0:1], v[82:83]
	v_fma_f64 v[82:83], v[88:89], s[0:1], -v[82:83]
	v_fma_f64 v[90:91], v[88:89], s[6:7], v[70:71]
	v_fma_f64 v[96:97], v[88:89], s[6:7], -v[70:71]
	;; [unrolled: 2-line block ×6, first 2 shown]
	v_add_f64 v[68:69], v[2:3], v[64:65]
	v_add_f64 v[70:71], v[0:1], v[66:67]
	v_add_f64 v[86:87], v[2:3], v[76:77]
	v_add_f64 v[64:65], v[2:3], v[94:95]
	v_add_f64 v[94:95], v[30:31], -v[24:25]
	v_add_f64 v[84:85], v[0:1], v[100:101]
	v_add_f64 v[88:89], v[0:1], v[82:83]
	;; [unrolled: 1-line block ×16, first 2 shown]
	v_add_f64 v[100:101], v[34:35], -v[28:29]
	v_mul_f64 v[10:11], v[120:121], s[4:5]
	v_add_f64 v[98:99], v[2:3], v[12:13]
	v_mul_f64 v[8:9], v[94:95], s[38:39]
	v_add_f64 v[102:103], v[34:35], v[28:29]
	v_add_f64 v[104:105], v[58:59], -v[20:21]
	v_add_f64 v[30:31], v[68:69], v[30:31]
	v_add_f64 v[62:63], v[70:71], v[62:63]
	v_mul_f64 v[4:5], v[92:93], s[24:25]
	v_fma_f64 v[12:13], v[100:101], s[12:13], v[10:11]
	v_fma_f64 v[2:3], v[74:75], s[24:25], v[8:9]
	v_add_f64 v[22:23], v[30:31], v[22:23]
	v_add_f64 v[30:31], v[62:63], v[34:35]
	v_fma_f64 v[0:1], v[72:73], s[26:27], v[4:5]
	v_fma_f64 v[4:5], v[72:73], s[38:39], v[4:5]
	v_add_f64 v[2:3], v[2:3], v[118:119]
	v_add_f64 v[118:119], v[44:45], v[48:49]
	;; [unrolled: 1-line block ×6, first 2 shown]
	v_fma_f64 v[6:7], v[74:75], s[24:25], -v[8:9]
	v_fma_f64 v[8:9], v[100:101], s[28:29], v[10:11]
	v_fma_f64 v[10:11], v[118:119], s[8:9], -v[161:162]
	v_add_f64 v[22:23], v[22:23], v[50:51]
	v_add_f64 v[30:31], v[30:31], v[36:37]
	;; [unrolled: 1-line block ×3, first 2 shown]
	v_mul_f64 v[12:13], v[122:123], s[28:29]
	v_add_f64 v[6:7], v[6:7], v[140:141]
	v_add_f64 v[4:5], v[8:9], v[4:5]
	v_mul_f64 v[140:141], v[120:121], s[16:17]
	v_add_f64 v[22:23], v[22:23], v[56:57]
	v_add_f64 v[30:31], v[30:31], v[44:45]
	v_fma_f64 v[14:15], v[102:103], s[4:5], v[12:13]
	v_fma_f64 v[8:9], v[102:103], s[4:5], -v[12:13]
	v_mul_f64 v[12:13], v[92:93], s[8:9]
	v_add_f64 v[22:23], v[22:23], v[46:47]
	v_add_f64 v[30:31], v[30:31], v[48:49]
	;; [unrolled: 1-line block ×3, first 2 shown]
	v_mul_f64 v[14:15], v[124:125], s[16:17]
	v_add_f64 v[6:7], v[8:9], v[6:7]
	v_add_f64 v[22:23], v[22:23], v[38:39]
	;; [unrolled: 1-line block ×3, first 2 shown]
	v_fma_f64 v[106:107], v[104:105], s[30:31], v[14:15]
	v_fma_f64 v[8:9], v[104:105], s[20:21], v[14:15]
	v_mul_f64 v[14:15], v[94:95], s[18:19]
	v_add_f64 v[22:23], v[22:23], v[32:33]
	v_add_f64 v[0:1], v[106:107], v[0:1]
	;; [unrolled: 1-line block ×6, first 2 shown]
	v_fma_f64 v[112:113], v[106:107], s[16:17], v[151:152]
	v_fma_f64 v[8:9], v[106:107], s[16:17], -v[151:152]
	v_add_f64 v[20:21], v[20:21], v[28:29]
	v_add_f64 v[22:23], v[22:23], v[24:25]
	;; [unrolled: 1-line block ×3, first 2 shown]
	v_add_f64 v[112:113], v[36:37], -v[40:41]
	v_add_f64 v[6:7], v[8:9], v[6:7]
	v_add_f64 v[24:25], v[20:21], v[26:27]
	;; [unrolled: 1-line block ×3, first 2 shown]
	v_fma_f64 v[114:115], v[112:113], s[10:11], v[153:154]
	v_fma_f64 v[8:9], v[112:113], s[34:35], v[153:154]
	v_add_f64 v[18:19], v[24:25], v[18:19]
	v_add_f64 v[0:1], v[114:115], v[0:1]
	;; [unrolled: 1-line block ×4, first 2 shown]
	v_fma_f64 v[116:117], v[114:115], s[0:1], v[155:156]
	v_fma_f64 v[8:9], v[114:115], s[0:1], -v[155:156]
	v_add_f64 v[157:158], v[116:117], v[2:3]
	v_add_f64 v[116:117], v[44:45], -v[48:49]
	v_add_f64 v[8:9], v[8:9], v[6:7]
	v_fma_f64 v[6:7], v[116:117], s[18:19], v[159:160]
	v_fma_f64 v[2:3], v[116:117], s[22:23], v[159:160]
	v_mul_f64 v[159:160], v[132:133], s[0:1]
	v_add_f64 v[6:7], v[6:7], v[4:5]
	v_add_f64 v[4:5], v[10:11], v[8:9]
	v_fma_f64 v[8:9], v[72:73], s[22:23], v[12:13]
	v_fma_f64 v[10:11], v[74:75], s[8:9], v[14:15]
	;; [unrolled: 1-line block ×3, first 2 shown]
	v_fma_f64 v[14:15], v[74:75], s[8:9], -v[14:15]
	v_add_f64 v[2:3], v[2:3], v[0:1]
	v_fma_f64 v[0:1], v[118:119], s[8:9], v[161:162]
	v_mul_f64 v[161:162], v[134:135], s[34:35]
	v_add_f64 v[8:9], v[8:9], v[143:144]
	v_fma_f64 v[143:144], v[100:101], s[20:21], v[140:141]
	v_add_f64 v[10:11], v[10:11], v[145:146]
	v_add_f64 v[12:13], v[12:13], v[147:148]
	v_fma_f64 v[140:141], v[100:101], s[30:31], v[140:141]
	v_add_f64 v[14:15], v[14:15], v[149:150]
	v_add_f64 v[0:1], v[0:1], v[157:158]
	;; [unrolled: 1-line block ×3, first 2 shown]
	v_mul_f64 v[143:144], v[122:123], s[30:31]
	v_add_f64 v[12:13], v[140:141], v[12:13]
	v_fma_f64 v[145:146], v[102:103], s[16:17], v[143:144]
	v_fma_f64 v[140:141], v[102:103], s[16:17], -v[143:144]
	v_fma_f64 v[143:144], v[118:119], s[0:1], -v[161:162]
	v_add_f64 v[10:11], v[145:146], v[10:11]
	v_mul_f64 v[145:146], v[124:125], s[6:7]
	v_add_f64 v[14:15], v[140:141], v[14:15]
	v_fma_f64 v[151:152], v[104:105], s[36:37], v[145:146]
	v_fma_f64 v[140:141], v[104:105], s[14:15], v[145:146]
	v_add_f64 v[8:9], v[151:152], v[8:9]
	v_mul_f64 v[151:152], v[126:127], s[14:15]
	v_add_f64 v[12:13], v[140:141], v[12:13]
	v_fma_f64 v[153:154], v[106:107], s[6:7], v[151:152]
	v_fma_f64 v[140:141], v[106:107], s[6:7], -v[151:152]
	v_add_f64 v[10:11], v[153:154], v[10:11]
	v_mul_f64 v[153:154], v[128:129], s[24:25]
	v_add_f64 v[14:15], v[140:141], v[14:15]
	v_fma_f64 v[155:156], v[112:113], s[26:27], v[153:154]
	v_fma_f64 v[140:141], v[112:113], s[38:39], v[153:154]
	v_add_f64 v[8:9], v[155:156], v[8:9]
	v_mul_f64 v[155:156], v[130:131], s[38:39]
	v_add_f64 v[12:13], v[140:141], v[12:13]
	v_fma_f64 v[140:141], v[114:115], s[24:25], -v[155:156]
	v_fma_f64 v[157:158], v[114:115], s[24:25], v[155:156]
	v_add_f64 v[140:141], v[140:141], v[14:15]
	v_fma_f64 v[14:15], v[116:117], s[34:35], v[159:160]
	v_add_f64 v[157:158], v[157:158], v[10:11]
	;; [unrolled: 2-line block ×3, first 2 shown]
	v_add_f64 v[12:13], v[143:144], v[140:141]
	v_mul_f64 v[140:141], v[92:93], s[16:17]
	v_add_f64 v[10:11], v[10:11], v[8:9]
	v_fma_f64 v[8:9], v[118:119], s[0:1], v[161:162]
	v_fma_f64 v[143:144], v[72:73], s[30:31], v[140:141]
	;; [unrolled: 1-line block ×3, first 2 shown]
	v_add_f64 v[8:9], v[8:9], v[157:158]
	v_add_f64 v[138:139], v[143:144], v[138:139]
	v_mul_f64 v[143:144], v[94:95], s[30:31]
	v_add_f64 v[16:17], v[16:17], v[64:65]
	v_fma_f64 v[145:146], v[74:75], s[16:17], -v[143:144]
	v_fma_f64 v[22:23], v[74:75], s[16:17], v[143:144]
	v_add_f64 v[136:137], v[145:146], v[136:137]
	v_mul_f64 v[145:146], v[120:121], s[8:9]
	v_add_f64 v[22:23], v[22:23], v[66:67]
	v_fma_f64 v[147:148], v[100:101], s[22:23], v[145:146]
	v_fma_f64 v[24:25], v[100:101], s[18:19], v[145:146]
	v_add_f64 v[138:139], v[147:148], v[138:139]
	v_mul_f64 v[147:148], v[122:123], s[22:23]
	v_add_f64 v[16:17], v[24:25], v[16:17]
	v_fma_f64 v[149:150], v[102:103], s[8:9], -v[147:148]
	v_fma_f64 v[26:27], v[102:103], s[8:9], v[147:148]
	v_add_f64 v[136:137], v[149:150], v[136:137]
	v_mul_f64 v[149:150], v[124:125], s[0:1]
	v_add_f64 v[22:23], v[26:27], v[22:23]
	v_fma_f64 v[151:152], v[104:105], s[34:35], v[149:150]
	v_fma_f64 v[28:29], v[104:105], s[10:11], v[149:150]
	;; [unrolled: 10-line block ×4, first 2 shown]
	v_add_f64 v[138:139], v[159:160], v[138:139]
	v_mul_f64 v[159:160], v[134:135], s[36:37]
	v_add_f64 v[24:25], v[28:29], v[16:17]
	v_fma_f64 v[161:162], v[118:119], s[6:7], -v[159:160]
	v_fma_f64 v[30:31], v[118:119], s[6:7], v[159:160]
	v_add_f64 v[136:137], v[161:162], v[136:137]
	v_mul_f64 v[161:162], v[92:93], s[0:1]
	v_add_f64 v[22:23], v[30:31], v[22:23]
	v_fma_f64 v[163:164], v[72:73], s[34:35], v[161:162]
	v_add_f64 v[110:111], v[163:164], v[110:111]
	v_mul_f64 v[163:164], v[94:95], s[34:35]
	v_fma_f64 v[165:166], v[74:75], s[0:1], -v[163:164]
	v_add_f64 v[108:109], v[165:166], v[108:109]
	v_mul_f64 v[165:166], v[120:121], s[6:7]
	v_fma_f64 v[167:168], v[100:101], s[36:37], v[165:166]
	v_add_f64 v[110:111], v[167:168], v[110:111]
	v_mul_f64 v[167:168], v[122:123], s[36:37]
	v_fma_f64 v[169:170], v[102:103], s[6:7], -v[167:168]
	v_add_f64 v[108:109], v[169:170], v[108:109]
	v_mul_f64 v[169:170], v[124:125], s[4:5]
	;; [unrolled: 6-line block ×5, first 2 shown]
	v_mul_f64 v[92:93], v[92:93], s[4:5]
	v_fma_f64 v[183:184], v[72:73], s[36:37], v[181:182]
	v_add_f64 v[98:99], v[183:184], v[98:99]
	v_mul_f64 v[183:184], v[94:95], s[36:37]
	v_mul_f64 v[94:95], v[94:95], s[12:13]
	v_fma_f64 v[185:186], v[74:75], s[6:7], -v[183:184]
	v_add_f64 v[96:97], v[185:186], v[96:97]
	v_mul_f64 v[185:186], v[120:121], s[0:1]
	v_mul_f64 v[120:121], v[120:121], s[24:25]
	v_fma_f64 v[187:188], v[100:101], s[10:11], v[185:186]
	v_add_f64 v[98:99], v[187:188], v[98:99]
	v_mul_f64 v[187:188], v[122:123], s[10:11]
	v_mul_f64 v[122:123], v[122:123], s[38:39]
	v_fma_f64 v[189:190], v[102:103], s[0:1], -v[187:188]
	v_add_f64 v[96:97], v[189:190], v[96:97]
	v_mul_f64 v[189:190], v[124:125], s[24:25]
	;; [unrolled: 8-line block ×4, first 2 shown]
	v_mul_f64 v[132:133], v[132:133], s[16:17]
	v_fma_f64 v[199:200], v[116:117], s[28:29], v[197:198]
	v_add_f64 v[98:99], v[199:200], v[98:99]
	v_mul_f64 v[199:200], v[134:135], s[28:29]
	v_mul_f64 v[134:135], v[134:135], s[20:21]
	v_fma_f64 v[201:202], v[118:119], s[4:5], -v[199:200]
	v_add_f64 v[96:97], v[201:202], v[96:97]
	v_fma_f64 v[201:202], v[72:73], s[12:13], v[92:93]
	v_fma_f64 v[92:93], v[72:73], s[28:29], v[92:93]
	v_add_f64 v[90:91], v[201:202], v[90:91]
	v_add_f64 v[86:87], v[92:93], v[86:87]
	v_fma_f64 v[92:93], v[74:75], s[4:5], v[94:95]
	v_fma_f64 v[201:202], v[74:75], s[4:5], -v[94:95]
	v_fma_f64 v[94:95], v[118:119], s[16:17], v[134:135]
	v_add_f64 v[84:85], v[92:93], v[84:85]
	v_fma_f64 v[92:93], v[100:101], s[26:27], v[120:121]
	v_add_f64 v[88:89], v[201:202], v[88:89]
	;; [unrolled: 2-line block ×4, first 2 shown]
	v_fma_f64 v[201:202], v[102:103], s[24:25], -v[122:123]
	v_add_f64 v[84:85], v[92:93], v[84:85]
	v_fma_f64 v[92:93], v[104:105], s[18:19], v[124:125]
	v_add_f64 v[88:89], v[201:202], v[88:89]
	v_fma_f64 v[201:202], v[104:105], s[22:23], v[124:125]
	;; [unrolled: 2-line block ×3, first 2 shown]
	v_add_f64 v[90:91], v[201:202], v[90:91]
	v_fma_f64 v[201:202], v[106:107], s[8:9], -v[126:127]
	v_add_f64 v[84:85], v[92:93], v[84:85]
	v_fma_f64 v[92:93], v[112:113], s[36:37], v[128:129]
	v_add_f64 v[88:89], v[201:202], v[88:89]
	v_fma_f64 v[201:202], v[112:113], s[14:15], v[128:129]
	;; [unrolled: 2-line block ×3, first 2 shown]
	v_add_f64 v[90:91], v[201:202], v[90:91]
	v_fma_f64 v[201:202], v[114:115], s[6:7], -v[130:131]
	v_add_f64 v[84:85], v[92:93], v[84:85]
	v_fma_f64 v[92:93], v[116:117], s[30:31], v[132:133]
	v_add_f64 v[88:89], v[201:202], v[88:89]
	v_fma_f64 v[201:202], v[116:117], s[20:21], v[132:133]
	v_add_f64 v[84:85], v[94:95], v[84:85]
	v_add_f64 v[86:87], v[92:93], v[86:87]
	v_fma_f64 v[92:93], v[72:73], s[14:15], v[181:182]
	v_fma_f64 v[94:95], v[118:119], s[4:5], v[199:200]
	v_add_f64 v[90:91], v[201:202], v[90:91]
	v_fma_f64 v[201:202], v[118:119], s[16:17], -v[134:135]
	v_add_f64 v[82:83], v[92:93], v[82:83]
	v_fma_f64 v[92:93], v[74:75], s[6:7], v[183:184]
	v_add_f64 v[88:89], v[201:202], v[88:89]
	v_add_f64 v[80:81], v[92:93], v[80:81]
	v_fma_f64 v[92:93], v[100:101], s[34:35], v[185:186]
	v_add_f64 v[82:83], v[92:93], v[82:83]
	v_fma_f64 v[92:93], v[102:103], s[0:1], v[187:188]
	;; [unrolled: 2-line block ×7, first 2 shown]
	v_add_f64 v[80:81], v[94:95], v[80:81]
	v_add_f64 v[82:83], v[92:93], v[82:83]
	v_fma_f64 v[92:93], v[72:73], s[10:11], v[161:162]
	v_fma_f64 v[94:95], v[118:119], s[24:25], v[179:180]
	v_add_f64 v[78:79], v[92:93], v[78:79]
	v_fma_f64 v[92:93], v[74:75], s[0:1], v[163:164]
	v_add_f64 v[76:77], v[92:93], v[76:77]
	;; [unrolled: 2-line block ×9, first 2 shown]
	v_add_f64 v[78:79], v[92:93], v[78:79]
	ds_write_b128 v142, v[136:139] offset:1600
	ds_write_b128 v142, v[108:111] offset:3200
	;; [unrolled: 1-line block ×11, first 2 shown]
	ds_write_b128 v142, v[18:21]
	ds_write_b128 v142, v[22:25] offset:19200
.LBB0_21:
	s_or_b32 exec_lo, exec_lo, s33
	s_waitcnt lgkmcnt(0)
	s_barrier
	buffer_gl0_inv
	s_and_saveexec_b32 s0, vcc_lo
	s_cbranch_execz .LBB0_23
; %bb.22:
	v_mov_b32_e32 v53, 0
	v_lshl_add_u32 v30, v52, 4, 0
	v_add_nc_u32_e32 v8, 0x82, v52
	v_add_co_u32 v31, vcc_lo, s2, v54
	v_mov_b32_e32 v9, v53
	v_lshlrev_b64 v[12:13], 4, v[52:53]
	ds_read_b128 v[0:3], v30
	ds_read_b128 v[4:7], v30 offset:2080
	v_add_co_ci_u32_e32 v32, vcc_lo, s3, v55, vcc_lo
	v_lshlrev_b64 v[14:15], 4, v[8:9]
	ds_read_b128 v[8:11], v30 offset:4160
	v_add_nc_u32_e32 v16, 0x104, v52
	v_mov_b32_e32 v17, v53
	v_add_co_u32 v20, vcc_lo, v31, v12
	v_add_co_ci_u32_e32 v21, vcc_lo, v32, v13, vcc_lo
	v_lshlrev_b64 v[12:13], 4, v[16:17]
	v_add_nc_u32_e32 v16, 0x186, v52
	v_add_co_u32 v22, vcc_lo, v31, v14
	v_add_co_ci_u32_e32 v23, vcc_lo, v32, v15, vcc_lo
	v_lshlrev_b64 v[26:27], 4, v[16:17]
	ds_read_b128 v[16:19], v30 offset:8320
	v_add_co_u32 v24, vcc_lo, v31, v12
	v_add_nc_u32_e32 v28, 0x208, v52
	v_mov_b32_e32 v29, v53
	v_add_co_ci_u32_e32 v25, vcc_lo, v32, v13, vcc_lo
	ds_read_b128 v[12:15], v30 offset:6240
	s_waitcnt lgkmcnt(4)
	global_store_dwordx4 v[20:21], v[0:3], off
	s_waitcnt lgkmcnt(3)
	global_store_dwordx4 v[22:23], v[4:7], off
	;; [unrolled: 2-line block ×3, first 2 shown]
	v_lshlrev_b64 v[0:1], 4, v[28:29]
	v_add_co_u32 v2, vcc_lo, v31, v26
	v_add_co_ci_u32_e32 v3, vcc_lo, v32, v27, vcc_lo
	v_add_nc_u32_e32 v4, 0x28a, v52
	v_mov_b32_e32 v5, v53
	v_add_co_u32 v6, vcc_lo, v31, v0
	v_add_co_ci_u32_e32 v7, vcc_lo, v32, v1, vcc_lo
	v_add_nc_u32_e32 v8, 0x30c, v52
	v_mov_b32_e32 v9, v53
	v_lshlrev_b64 v[4:5], 4, v[4:5]
	s_waitcnt lgkmcnt(1)
	global_store_dwordx4 v[6:7], v[16:19], off
	v_add_nc_u32_e32 v24, 0x410, v52
	v_mov_b32_e32 v25, v53
	v_lshlrev_b64 v[6:7], 4, v[8:9]
	s_waitcnt lgkmcnt(0)
	global_store_dwordx4 v[2:3], v[12:15], off
	v_add_co_u32 v20, vcc_lo, v31, v4
	v_add_nc_u32_e32 v12, 0x38e, v52
	v_mov_b32_e32 v13, v53
	v_add_co_ci_u32_e32 v21, vcc_lo, v32, v5, vcc_lo
	v_add_co_u32 v22, vcc_lo, v31, v6
	ds_read_b128 v[0:3], v30 offset:10400
	v_add_co_ci_u32_e32 v23, vcc_lo, v32, v7, vcc_lo
	ds_read_b128 v[4:7], v30 offset:12480
	ds_read_b128 v[8:11], v30 offset:14560
	v_lshlrev_b64 v[26:27], 4, v[12:13]
	ds_read_b128 v[12:15], v30 offset:16640
	ds_read_b128 v[16:19], v30 offset:18720
	v_add_nc_u32_e32 v52, 0x492, v52
	v_lshlrev_b64 v[24:25], 4, v[24:25]
	v_add_co_u32 v26, vcc_lo, v31, v26
	v_lshlrev_b64 v[28:29], 4, v[52:53]
	v_add_co_ci_u32_e32 v27, vcc_lo, v32, v27, vcc_lo
	v_add_co_u32 v24, vcc_lo, v31, v24
	v_add_co_ci_u32_e32 v25, vcc_lo, v32, v25, vcc_lo
	v_add_co_u32 v28, vcc_lo, v31, v28
	v_add_co_ci_u32_e32 v29, vcc_lo, v32, v29, vcc_lo
	s_waitcnt lgkmcnt(4)
	global_store_dwordx4 v[20:21], v[0:3], off
	s_waitcnt lgkmcnt(3)
	global_store_dwordx4 v[22:23], v[4:7], off
	;; [unrolled: 2-line block ×5, first 2 shown]
.LBB0_23:
	s_endpgm
	.section	.rodata,"a",@progbits
	.p2align	6, 0x0
	.amdhsa_kernel fft_rtc_fwd_len1300_factors_10_10_13_wgs_130_tpt_130_dp_ip_CI_unitstride_sbrr_C2R_dirReg
		.amdhsa_group_segment_fixed_size 0
		.amdhsa_private_segment_fixed_size 0
		.amdhsa_kernarg_size 88
		.amdhsa_user_sgpr_count 6
		.amdhsa_user_sgpr_private_segment_buffer 1
		.amdhsa_user_sgpr_dispatch_ptr 0
		.amdhsa_user_sgpr_queue_ptr 0
		.amdhsa_user_sgpr_kernarg_segment_ptr 1
		.amdhsa_user_sgpr_dispatch_id 0
		.amdhsa_user_sgpr_flat_scratch_init 0
		.amdhsa_user_sgpr_private_segment_size 0
		.amdhsa_wavefront_size32 1
		.amdhsa_uses_dynamic_stack 0
		.amdhsa_system_sgpr_private_segment_wavefront_offset 0
		.amdhsa_system_sgpr_workgroup_id_x 1
		.amdhsa_system_sgpr_workgroup_id_y 0
		.amdhsa_system_sgpr_workgroup_id_z 0
		.amdhsa_system_sgpr_workgroup_info 0
		.amdhsa_system_vgpr_workitem_id 0
		.amdhsa_next_free_vgpr 203
		.amdhsa_next_free_sgpr 40
		.amdhsa_reserve_vcc 1
		.amdhsa_reserve_flat_scratch 0
		.amdhsa_float_round_mode_32 0
		.amdhsa_float_round_mode_16_64 0
		.amdhsa_float_denorm_mode_32 3
		.amdhsa_float_denorm_mode_16_64 3
		.amdhsa_dx10_clamp 1
		.amdhsa_ieee_mode 1
		.amdhsa_fp16_overflow 0
		.amdhsa_workgroup_processor_mode 1
		.amdhsa_memory_ordered 1
		.amdhsa_forward_progress 0
		.amdhsa_shared_vgpr_count 0
		.amdhsa_exception_fp_ieee_invalid_op 0
		.amdhsa_exception_fp_denorm_src 0
		.amdhsa_exception_fp_ieee_div_zero 0
		.amdhsa_exception_fp_ieee_overflow 0
		.amdhsa_exception_fp_ieee_underflow 0
		.amdhsa_exception_fp_ieee_inexact 0
		.amdhsa_exception_int_div_zero 0
	.end_amdhsa_kernel
	.text
.Lfunc_end0:
	.size	fft_rtc_fwd_len1300_factors_10_10_13_wgs_130_tpt_130_dp_ip_CI_unitstride_sbrr_C2R_dirReg, .Lfunc_end0-fft_rtc_fwd_len1300_factors_10_10_13_wgs_130_tpt_130_dp_ip_CI_unitstride_sbrr_C2R_dirReg
                                        ; -- End function
	.section	.AMDGPU.csdata,"",@progbits
; Kernel info:
; codeLenInByte = 10944
; NumSgprs: 42
; NumVgprs: 203
; ScratchSize: 0
; MemoryBound: 0
; FloatMode: 240
; IeeeMode: 1
; LDSByteSize: 0 bytes/workgroup (compile time only)
; SGPRBlocks: 5
; VGPRBlocks: 25
; NumSGPRsForWavesPerEU: 42
; NumVGPRsForWavesPerEU: 203
; Occupancy: 4
; WaveLimiterHint : 1
; COMPUTE_PGM_RSRC2:SCRATCH_EN: 0
; COMPUTE_PGM_RSRC2:USER_SGPR: 6
; COMPUTE_PGM_RSRC2:TRAP_HANDLER: 0
; COMPUTE_PGM_RSRC2:TGID_X_EN: 1
; COMPUTE_PGM_RSRC2:TGID_Y_EN: 0
; COMPUTE_PGM_RSRC2:TGID_Z_EN: 0
; COMPUTE_PGM_RSRC2:TIDIG_COMP_CNT: 0
	.text
	.p2alignl 6, 3214868480
	.fill 48, 4, 3214868480
	.type	__hip_cuid_9666bcf64313b6ab,@object ; @__hip_cuid_9666bcf64313b6ab
	.section	.bss,"aw",@nobits
	.globl	__hip_cuid_9666bcf64313b6ab
__hip_cuid_9666bcf64313b6ab:
	.byte	0                               ; 0x0
	.size	__hip_cuid_9666bcf64313b6ab, 1

	.ident	"AMD clang version 19.0.0git (https://github.com/RadeonOpenCompute/llvm-project roc-6.4.0 25133 c7fe45cf4b819c5991fe208aaa96edf142730f1d)"
	.section	".note.GNU-stack","",@progbits
	.addrsig
	.addrsig_sym __hip_cuid_9666bcf64313b6ab
	.amdgpu_metadata
---
amdhsa.kernels:
  - .args:
      - .actual_access:  read_only
        .address_space:  global
        .offset:         0
        .size:           8
        .value_kind:     global_buffer
      - .offset:         8
        .size:           8
        .value_kind:     by_value
      - .actual_access:  read_only
        .address_space:  global
        .offset:         16
        .size:           8
        .value_kind:     global_buffer
      - .actual_access:  read_only
        .address_space:  global
        .offset:         24
        .size:           8
        .value_kind:     global_buffer
      - .offset:         32
        .size:           8
        .value_kind:     by_value
      - .actual_access:  read_only
        .address_space:  global
        .offset:         40
        .size:           8
        .value_kind:     global_buffer
      - .actual_access:  read_only
        .address_space:  global
        .offset:         48
        .size:           8
        .value_kind:     global_buffer
      - .offset:         56
        .size:           4
        .value_kind:     by_value
      - .actual_access:  read_only
        .address_space:  global
        .offset:         64
        .size:           8
        .value_kind:     global_buffer
      - .actual_access:  read_only
        .address_space:  global
        .offset:         72
        .size:           8
        .value_kind:     global_buffer
      - .address_space:  global
        .offset:         80
        .size:           8
        .value_kind:     global_buffer
    .group_segment_fixed_size: 0
    .kernarg_segment_align: 8
    .kernarg_segment_size: 88
    .language:       OpenCL C
    .language_version:
      - 2
      - 0
    .max_flat_workgroup_size: 130
    .name:           fft_rtc_fwd_len1300_factors_10_10_13_wgs_130_tpt_130_dp_ip_CI_unitstride_sbrr_C2R_dirReg
    .private_segment_fixed_size: 0
    .sgpr_count:     42
    .sgpr_spill_count: 0
    .symbol:         fft_rtc_fwd_len1300_factors_10_10_13_wgs_130_tpt_130_dp_ip_CI_unitstride_sbrr_C2R_dirReg.kd
    .uniform_work_group_size: 1
    .uses_dynamic_stack: false
    .vgpr_count:     203
    .vgpr_spill_count: 0
    .wavefront_size: 32
    .workgroup_processor_mode: 1
amdhsa.target:   amdgcn-amd-amdhsa--gfx1030
amdhsa.version:
  - 1
  - 2
...

	.end_amdgpu_metadata
